;; amdgpu-corpus repo=ROCm/rocFFT kind=compiled arch=gfx1201 opt=O3
	.text
	.amdgcn_target "amdgcn-amd-amdhsa--gfx1201"
	.amdhsa_code_object_version 6
	.protected	fft_rtc_fwd_len390_factors_13_3_10_wgs_117_tpt_39_dp_ip_CI_unitstride_sbrr_dirReg ; -- Begin function fft_rtc_fwd_len390_factors_13_3_10_wgs_117_tpt_39_dp_ip_CI_unitstride_sbrr_dirReg
	.globl	fft_rtc_fwd_len390_factors_13_3_10_wgs_117_tpt_39_dp_ip_CI_unitstride_sbrr_dirReg
	.p2align	8
	.type	fft_rtc_fwd_len390_factors_13_3_10_wgs_117_tpt_39_dp_ip_CI_unitstride_sbrr_dirReg,@function
fft_rtc_fwd_len390_factors_13_3_10_wgs_117_tpt_39_dp_ip_CI_unitstride_sbrr_dirReg: ; @fft_rtc_fwd_len390_factors_13_3_10_wgs_117_tpt_39_dp_ip_CI_unitstride_sbrr_dirReg
; %bb.0:
	s_load_b128 s[4:7], s[0:1], 0x0
	v_mul_u32_u24_e32 v1, 0x691, v0
	s_clause 0x1
	s_load_b64 s[8:9], s[0:1], 0x50
	s_load_b64 s[10:11], s[0:1], 0x18
	v_mov_b32_e32 v3, 0
	v_lshrrev_b32_e32 v1, 16, v1
	s_delay_alu instid0(VALU_DEP_1) | instskip(SKIP_3) | instid1(VALU_DEP_1)
	v_mad_co_u64_u32 v[69:70], null, ttmp9, 3, v[1:2]
	v_mov_b32_e32 v1, 0
	v_mov_b32_e32 v2, 0
	;; [unrolled: 1-line block ×3, first 2 shown]
	v_dual_mov_b32 v7, v69 :: v_dual_mov_b32 v8, v70
	s_wait_kmcnt 0x0
	v_cmp_lt_u64_e64 s2, s[6:7], 2
	s_delay_alu instid0(VALU_DEP_1)
	s_and_b32 vcc_lo, exec_lo, s2
	s_cbranch_vccnz .LBB0_8
; %bb.1:
	s_load_b64 s[2:3], s[0:1], 0x10
	v_mov_b32_e32 v1, 0
	v_dual_mov_b32 v2, 0 :: v_dual_mov_b32 v5, v69
	v_mov_b32_e32 v6, v70
	s_add_nc_u64 s[12:13], s[10:11], 8
	s_mov_b64 s[14:15], 1
	s_wait_kmcnt 0x0
	s_add_nc_u64 s[16:17], s[2:3], 8
	s_mov_b32 s3, 0
.LBB0_2:                                ; =>This Inner Loop Header: Depth=1
	s_load_b64 s[18:19], s[16:17], 0x0
                                        ; implicit-def: $vgpr7_vgpr8
	s_mov_b32 s2, exec_lo
	s_wait_kmcnt 0x0
	v_or_b32_e32 v4, s19, v6
	s_delay_alu instid0(VALU_DEP_1)
	v_cmpx_ne_u64_e32 0, v[3:4]
	s_wait_alu 0xfffe
	s_xor_b32 s20, exec_lo, s2
	s_cbranch_execz .LBB0_4
; %bb.3:                                ;   in Loop: Header=BB0_2 Depth=1
	s_cvt_f32_u32 s2, s18
	s_cvt_f32_u32 s21, s19
	s_sub_nc_u64 s[24:25], 0, s[18:19]
	s_wait_alu 0xfffe
	s_delay_alu instid0(SALU_CYCLE_1) | instskip(SKIP_1) | instid1(SALU_CYCLE_2)
	s_fmamk_f32 s2, s21, 0x4f800000, s2
	s_wait_alu 0xfffe
	v_s_rcp_f32 s2, s2
	s_delay_alu instid0(TRANS32_DEP_1) | instskip(SKIP_1) | instid1(SALU_CYCLE_2)
	s_mul_f32 s2, s2, 0x5f7ffffc
	s_wait_alu 0xfffe
	s_mul_f32 s21, s2, 0x2f800000
	s_wait_alu 0xfffe
	s_delay_alu instid0(SALU_CYCLE_2) | instskip(SKIP_1) | instid1(SALU_CYCLE_2)
	s_trunc_f32 s21, s21
	s_wait_alu 0xfffe
	s_fmamk_f32 s2, s21, 0xcf800000, s2
	s_cvt_u32_f32 s23, s21
	s_wait_alu 0xfffe
	s_delay_alu instid0(SALU_CYCLE_1) | instskip(SKIP_1) | instid1(SALU_CYCLE_2)
	s_cvt_u32_f32 s22, s2
	s_wait_alu 0xfffe
	s_mul_u64 s[26:27], s[24:25], s[22:23]
	s_wait_alu 0xfffe
	s_mul_hi_u32 s29, s22, s27
	s_mul_i32 s28, s22, s27
	s_mul_hi_u32 s2, s22, s26
	s_mul_i32 s30, s23, s26
	s_wait_alu 0xfffe
	s_add_nc_u64 s[28:29], s[2:3], s[28:29]
	s_mul_hi_u32 s21, s23, s26
	s_mul_hi_u32 s31, s23, s27
	s_add_co_u32 s2, s28, s30
	s_wait_alu 0xfffe
	s_add_co_ci_u32 s2, s29, s21
	s_mul_i32 s26, s23, s27
	s_add_co_ci_u32 s27, s31, 0
	s_wait_alu 0xfffe
	s_add_nc_u64 s[26:27], s[2:3], s[26:27]
	s_wait_alu 0xfffe
	v_add_co_u32 v4, s2, s22, s26
	s_delay_alu instid0(VALU_DEP_1) | instskip(SKIP_1) | instid1(VALU_DEP_1)
	s_cmp_lg_u32 s2, 0
	s_add_co_ci_u32 s23, s23, s27
	v_readfirstlane_b32 s22, v4
	s_wait_alu 0xfffe
	s_delay_alu instid0(VALU_DEP_1)
	s_mul_u64 s[24:25], s[24:25], s[22:23]
	s_wait_alu 0xfffe
	s_mul_hi_u32 s27, s22, s25
	s_mul_i32 s26, s22, s25
	s_mul_hi_u32 s2, s22, s24
	s_mul_i32 s28, s23, s24
	s_wait_alu 0xfffe
	s_add_nc_u64 s[26:27], s[2:3], s[26:27]
	s_mul_hi_u32 s21, s23, s24
	s_mul_hi_u32 s22, s23, s25
	s_wait_alu 0xfffe
	s_add_co_u32 s2, s26, s28
	s_add_co_ci_u32 s2, s27, s21
	s_mul_i32 s24, s23, s25
	s_add_co_ci_u32 s25, s22, 0
	s_wait_alu 0xfffe
	s_add_nc_u64 s[24:25], s[2:3], s[24:25]
	s_wait_alu 0xfffe
	v_add_co_u32 v4, s2, v4, s24
	s_delay_alu instid0(VALU_DEP_1) | instskip(SKIP_1) | instid1(VALU_DEP_1)
	s_cmp_lg_u32 s2, 0
	s_add_co_ci_u32 s2, s23, s25
	v_mul_hi_u32 v13, v5, v4
	s_wait_alu 0xfffe
	v_mad_co_u64_u32 v[7:8], null, v5, s2, 0
	v_mad_co_u64_u32 v[9:10], null, v6, v4, 0
	;; [unrolled: 1-line block ×3, first 2 shown]
	s_delay_alu instid0(VALU_DEP_3) | instskip(SKIP_1) | instid1(VALU_DEP_4)
	v_add_co_u32 v4, vcc_lo, v13, v7
	s_wait_alu 0xfffd
	v_add_co_ci_u32_e32 v7, vcc_lo, 0, v8, vcc_lo
	s_delay_alu instid0(VALU_DEP_2) | instskip(SKIP_1) | instid1(VALU_DEP_2)
	v_add_co_u32 v4, vcc_lo, v4, v9
	s_wait_alu 0xfffd
	v_add_co_ci_u32_e32 v4, vcc_lo, v7, v10, vcc_lo
	s_wait_alu 0xfffd
	v_add_co_ci_u32_e32 v7, vcc_lo, 0, v12, vcc_lo
	s_delay_alu instid0(VALU_DEP_2) | instskip(SKIP_1) | instid1(VALU_DEP_2)
	v_add_co_u32 v4, vcc_lo, v4, v11
	s_wait_alu 0xfffd
	v_add_co_ci_u32_e32 v9, vcc_lo, 0, v7, vcc_lo
	s_delay_alu instid0(VALU_DEP_2) | instskip(SKIP_1) | instid1(VALU_DEP_3)
	v_mul_lo_u32 v10, s19, v4
	v_mad_co_u64_u32 v[7:8], null, s18, v4, 0
	v_mul_lo_u32 v11, s18, v9
	s_delay_alu instid0(VALU_DEP_2) | instskip(NEXT) | instid1(VALU_DEP_2)
	v_sub_co_u32 v7, vcc_lo, v5, v7
	v_add3_u32 v8, v8, v11, v10
	s_delay_alu instid0(VALU_DEP_1) | instskip(SKIP_1) | instid1(VALU_DEP_1)
	v_sub_nc_u32_e32 v10, v6, v8
	s_wait_alu 0xfffd
	v_subrev_co_ci_u32_e64 v10, s2, s19, v10, vcc_lo
	v_add_co_u32 v11, s2, v4, 2
	s_wait_alu 0xf1ff
	v_add_co_ci_u32_e64 v12, s2, 0, v9, s2
	v_sub_co_u32 v13, s2, v7, s18
	v_sub_co_ci_u32_e32 v8, vcc_lo, v6, v8, vcc_lo
	s_wait_alu 0xf1ff
	v_subrev_co_ci_u32_e64 v10, s2, 0, v10, s2
	s_delay_alu instid0(VALU_DEP_3) | instskip(NEXT) | instid1(VALU_DEP_3)
	v_cmp_le_u32_e32 vcc_lo, s18, v13
	v_cmp_eq_u32_e64 s2, s19, v8
	s_wait_alu 0xfffd
	v_cndmask_b32_e64 v13, 0, -1, vcc_lo
	v_cmp_le_u32_e32 vcc_lo, s19, v10
	s_wait_alu 0xfffd
	v_cndmask_b32_e64 v14, 0, -1, vcc_lo
	v_cmp_le_u32_e32 vcc_lo, s18, v7
	;; [unrolled: 3-line block ×3, first 2 shown]
	s_wait_alu 0xfffd
	v_cndmask_b32_e64 v15, 0, -1, vcc_lo
	v_cmp_eq_u32_e32 vcc_lo, s19, v10
	s_wait_alu 0xf1ff
	s_delay_alu instid0(VALU_DEP_2)
	v_cndmask_b32_e64 v7, v15, v7, s2
	s_wait_alu 0xfffd
	v_cndmask_b32_e32 v10, v14, v13, vcc_lo
	v_add_co_u32 v13, vcc_lo, v4, 1
	s_wait_alu 0xfffd
	v_add_co_ci_u32_e32 v14, vcc_lo, 0, v9, vcc_lo
	s_delay_alu instid0(VALU_DEP_3) | instskip(SKIP_2) | instid1(VALU_DEP_3)
	v_cmp_ne_u32_e32 vcc_lo, 0, v10
	s_wait_alu 0xfffd
	v_cndmask_b32_e32 v10, v13, v11, vcc_lo
	v_cndmask_b32_e32 v8, v14, v12, vcc_lo
	v_cmp_ne_u32_e32 vcc_lo, 0, v7
	s_wait_alu 0xfffd
	s_delay_alu instid0(VALU_DEP_2)
	v_dual_cndmask_b32 v7, v4, v10 :: v_dual_cndmask_b32 v8, v9, v8
.LBB0_4:                                ;   in Loop: Header=BB0_2 Depth=1
	s_wait_alu 0xfffe
	s_and_not1_saveexec_b32 s2, s20
	s_cbranch_execz .LBB0_6
; %bb.5:                                ;   in Loop: Header=BB0_2 Depth=1
	v_cvt_f32_u32_e32 v4, s18
	s_sub_co_i32 s20, 0, s18
	s_delay_alu instid0(VALU_DEP_1) | instskip(NEXT) | instid1(TRANS32_DEP_1)
	v_rcp_iflag_f32_e32 v4, v4
	v_mul_f32_e32 v4, 0x4f7ffffe, v4
	s_delay_alu instid0(VALU_DEP_1) | instskip(SKIP_1) | instid1(VALU_DEP_1)
	v_cvt_u32_f32_e32 v4, v4
	s_wait_alu 0xfffe
	v_mul_lo_u32 v7, s20, v4
	s_delay_alu instid0(VALU_DEP_1) | instskip(NEXT) | instid1(VALU_DEP_1)
	v_mul_hi_u32 v7, v4, v7
	v_add_nc_u32_e32 v4, v4, v7
	s_delay_alu instid0(VALU_DEP_1) | instskip(NEXT) | instid1(VALU_DEP_1)
	v_mul_hi_u32 v4, v5, v4
	v_mul_lo_u32 v7, v4, s18
	v_add_nc_u32_e32 v8, 1, v4
	s_delay_alu instid0(VALU_DEP_2) | instskip(NEXT) | instid1(VALU_DEP_1)
	v_sub_nc_u32_e32 v7, v5, v7
	v_subrev_nc_u32_e32 v9, s18, v7
	v_cmp_le_u32_e32 vcc_lo, s18, v7
	s_wait_alu 0xfffd
	s_delay_alu instid0(VALU_DEP_2) | instskip(NEXT) | instid1(VALU_DEP_1)
	v_dual_cndmask_b32 v7, v7, v9 :: v_dual_cndmask_b32 v4, v4, v8
	v_cmp_le_u32_e32 vcc_lo, s18, v7
	s_delay_alu instid0(VALU_DEP_2) | instskip(SKIP_1) | instid1(VALU_DEP_1)
	v_add_nc_u32_e32 v8, 1, v4
	s_wait_alu 0xfffd
	v_dual_cndmask_b32 v7, v4, v8 :: v_dual_mov_b32 v8, v3
.LBB0_6:                                ;   in Loop: Header=BB0_2 Depth=1
	s_wait_alu 0xfffe
	s_or_b32 exec_lo, exec_lo, s2
	s_load_b64 s[20:21], s[12:13], 0x0
	s_delay_alu instid0(VALU_DEP_1)
	v_mul_lo_u32 v4, v8, s18
	v_mul_lo_u32 v11, v7, s19
	v_mad_co_u64_u32 v[9:10], null, v7, s18, 0
	s_add_nc_u64 s[14:15], s[14:15], 1
	s_add_nc_u64 s[12:13], s[12:13], 8
	s_wait_alu 0xfffe
	v_cmp_ge_u64_e64 s2, s[14:15], s[6:7]
	s_add_nc_u64 s[16:17], s[16:17], 8
	s_delay_alu instid0(VALU_DEP_2) | instskip(NEXT) | instid1(VALU_DEP_3)
	v_add3_u32 v4, v10, v11, v4
	v_sub_co_u32 v5, vcc_lo, v5, v9
	s_wait_alu 0xfffd
	s_delay_alu instid0(VALU_DEP_2) | instskip(SKIP_3) | instid1(VALU_DEP_2)
	v_sub_co_ci_u32_e32 v4, vcc_lo, v6, v4, vcc_lo
	s_and_b32 vcc_lo, exec_lo, s2
	s_wait_kmcnt 0x0
	v_mul_lo_u32 v6, s21, v5
	v_mul_lo_u32 v4, s20, v4
	v_mad_co_u64_u32 v[1:2], null, s20, v5, v[1:2]
	s_delay_alu instid0(VALU_DEP_1)
	v_add3_u32 v2, v6, v2, v4
	s_wait_alu 0xfffe
	s_cbranch_vccnz .LBB0_8
; %bb.7:                                ;   in Loop: Header=BB0_2 Depth=1
	v_dual_mov_b32 v5, v7 :: v_dual_mov_b32 v6, v8
	s_branch .LBB0_2
.LBB0_8:
	s_lshl_b64 s[2:3], s[6:7], 3
	v_mul_hi_u32 v3, 0x6906907, v0
	s_wait_alu 0xfffe
	s_add_nc_u64 s[2:3], s[10:11], s[2:3]
	v_mov_b32_e32 v66, 0
	s_load_b64 s[2:3], s[2:3], 0x0
	s_load_b64 s[0:1], s[0:1], 0x20
                                        ; implicit-def: $vgpr14_vgpr15
                                        ; implicit-def: $vgpr18_vgpr19
                                        ; implicit-def: $vgpr34_vgpr35
                                        ; implicit-def: $vgpr46_vgpr47
                                        ; implicit-def: $vgpr54_vgpr55
                                        ; implicit-def: $vgpr62_vgpr63
                                        ; implicit-def: $vgpr58_vgpr59
                                        ; implicit-def: $vgpr50_vgpr51
                                        ; implicit-def: $vgpr42_vgpr43
                                        ; implicit-def: $vgpr38_vgpr39
                                        ; implicit-def: $vgpr30_vgpr31
	s_wait_kmcnt 0x0
	v_mul_lo_u32 v4, s2, v8
	v_mul_lo_u32 v5, s3, v7
	v_mad_co_u64_u32 v[64:65], null, s2, v7, v[1:2]
	v_mul_u32_u24_e32 v1, 39, v3
	v_cmp_gt_u64_e32 vcc_lo, s[0:1], v[7:8]
                                        ; implicit-def: $vgpr2_vgpr3
                                        ; implicit-def: $vgpr6_vgpr7
	s_delay_alu instid0(VALU_DEP_2) | instskip(NEXT) | instid1(VALU_DEP_4)
	v_sub_nc_u32_e32 v67, v0, v1
	v_add3_u32 v65, v5, v65, v4
	s_and_saveexec_b32 s1, vcc_lo
	s_cbranch_execz .LBB0_12
; %bb.9:
	s_mov_b32 s2, exec_lo
                                        ; implicit-def: $vgpr28_vgpr29
                                        ; implicit-def: $vgpr36_vgpr37
                                        ; implicit-def: $vgpr40_vgpr41
                                        ; implicit-def: $vgpr48_vgpr49
                                        ; implicit-def: $vgpr56_vgpr57
                                        ; implicit-def: $vgpr60_vgpr61
                                        ; implicit-def: $vgpr52_vgpr53
                                        ; implicit-def: $vgpr44_vgpr45
                                        ; implicit-def: $vgpr32_vgpr33
                                        ; implicit-def: $vgpr16_vgpr17
                                        ; implicit-def: $vgpr12_vgpr13
                                        ; implicit-def: $vgpr4_vgpr5
                                        ; implicit-def: $vgpr0_vgpr1
	v_cmpx_gt_u32_e32 30, v67
; %bb.10:
	v_mov_b32_e32 v68, 0
	v_lshlrev_b64_e32 v[0:1], 4, v[64:65]
	s_delay_alu instid0(VALU_DEP_2) | instskip(NEXT) | instid1(VALU_DEP_2)
	v_lshlrev_b64_e32 v[2:3], 4, v[67:68]
	v_add_co_u32 v0, s0, s8, v0
	s_wait_alu 0xf1ff
	s_delay_alu instid0(VALU_DEP_3) | instskip(NEXT) | instid1(VALU_DEP_2)
	v_add_co_ci_u32_e64 v1, s0, s9, v1, s0
	v_add_co_u32 v0, s0, v0, v2
	s_wait_alu 0xf1ff
	s_delay_alu instid0(VALU_DEP_2)
	v_add_co_ci_u32_e64 v1, s0, v1, v3, s0
	s_clause 0xc
	global_load_b128 v[28:31], v[0:1], off
	global_load_b128 v[36:39], v[0:1], off offset:480
	global_load_b128 v[40:43], v[0:1], off offset:960
	;; [unrolled: 1-line block ×12, first 2 shown]
; %bb.11:
	s_wait_alu 0xfffe
	s_or_b32 exec_lo, exec_lo, s2
	v_mov_b32_e32 v66, v67
.LBB0_12:
	s_wait_alu 0xfffe
	s_or_b32 exec_lo, exec_lo, s1
	s_wait_loadcnt 0x0
	v_add_f64_e32 v[72:73], v[0:1], v[36:37]
	v_add_f64_e64 v[76:77], v[36:37], -v[0:1]
	s_mov_b32 s6, 0x1ea71119
	s_mov_b32 s12, 0x42a4c3d2
	;; [unrolled: 1-line block ×12, first 2 shown]
	v_add_f64_e64 v[78:79], v[38:39], -v[2:3]
	v_add_f64_e32 v[70:71], v[4:5], v[40:41]
	v_add_f64_e32 v[80:81], v[2:3], v[38:39]
	v_add_f64_e64 v[74:75], v[40:41], -v[4:5]
	s_mov_b32 s18, 0x93053d00
	s_mov_b32 s22, 0x4bc48dbf
	;; [unrolled: 1-line block ×8, first 2 shown]
	v_add_f64_e64 v[140:141], v[42:43], -v[6:7]
	v_add_f64_e32 v[104:105], v[6:7], v[42:43]
	v_add_f64_e32 v[102:103], v[12:13], v[48:49]
	v_add_f64_e64 v[148:149], v[48:49], -v[12:13]
	s_mov_b32 s24, 0xe00740e9
	s_mov_b32 s39, 0x3fedeba7
	;; [unrolled: 1-line block ×6, first 2 shown]
	v_add_f64_e64 v[166:167], v[50:51], -v[14:15]
	v_add_f64_e32 v[146:147], v[14:15], v[50:51]
	s_wait_alu 0xfffe
	v_mul_f64_e32 v[82:83], s[6:7], v[72:73]
	v_mul_f64_e32 v[84:85], s[12:13], v[76:77]
	;; [unrolled: 1-line block ×6, first 2 shown]
	v_add_f64_e32 v[94:95], v[16:17], v[56:57]
	v_add_f64_e64 v[134:135], v[56:57], -v[16:17]
	v_add_f64_e64 v[156:157], v[58:59], -v[18:19]
	v_add_f64_e32 v[128:129], v[18:19], v[58:59]
	v_add_f64_e32 v[90:91], v[32:33], v[60:61]
	v_add_f64_e64 v[112:113], v[60:61], -v[32:33]
	s_mov_b32 s29, 0x3fefc445
	s_mov_b32 s37, 0x3fcea1e5
	;; [unrolled: 1-line block ×3, first 2 shown]
	v_mul_f64_e32 v[120:121], s[2:3], v[70:71]
	v_mul_f64_e32 v[142:143], s[18:19], v[70:71]
	;; [unrolled: 1-line block ×6, first 2 shown]
	s_mov_b32 s36, s22
	v_add_f64_e64 v[150:151], v[62:63], -v[34:35]
	v_add_f64_e64 v[144:145], v[52:53], -v[44:45]
	s_mov_b32 s31, 0xbfe5384d
	s_mov_b32 s35, 0x3fea55e2
	;; [unrolled: 1-line block ×4, first 2 shown]
	v_mul_f64_e32 v[154:155], s[18:19], v[102:103]
	v_mul_f64_e32 v[160:161], s[22:23], v[148:149]
	;; [unrolled: 1-line block ×6, first 2 shown]
	v_mul_hi_u32 v68, 0xaaaaaaab, v69
	s_mov_b32 s1, exec_lo
	v_fma_f64 v[8:9], v[78:79], s[12:13], v[82:83]
	v_fma_f64 v[10:11], v[80:81], s[6:7], -v[84:85]
	v_fma_f64 v[20:21], v[78:79], s[16:17], v[88:89]
	v_fma_f64 v[22:23], v[80:81], s[14:15], -v[92:93]
	;; [unrolled: 2-line block ×3, first 2 shown]
	v_mul_f64_e32 v[136:137], s[20:21], v[94:95]
	v_mul_f64_e32 v[176:177], s[26:27], v[134:135]
	;; [unrolled: 1-line block ×9, first 2 shown]
	v_fma_f64 v[86:87], v[140:141], s[10:11], v[120:121]
	v_fma_f64 v[98:99], v[140:141], s[22:23], v[142:143]
	v_fma_f64 v[96:97], v[104:105], s[2:3], -v[132:133]
	v_fma_f64 v[100:101], v[104:105], s[18:19], -v[152:153]
	v_fma_f64 v[106:107], v[140:141], s[26:27], v[158:159]
	v_fma_f64 v[108:109], v[104:105], s[20:21], -v[164:165]
	v_mul_f64_e32 v[126:127], s[12:13], v[112:113]
	v_mul_f64_e32 v[130:131], s[18:19], v[90:91]
	;; [unrolled: 1-line block ×3, first 2 shown]
	v_lshrrev_b32_e32 v68, 1, v68
	v_fma_f64 v[110:111], v[166:167], s[22:23], v[154:155]
	v_fma_f64 v[114:115], v[146:147], s[18:19], -v[160:161]
	v_fma_f64 v[124:125], v[166:167], s[38:39], v[168:169]
	v_fma_f64 v[162:163], v[146:147], s[2:3], -v[172:173]
	;; [unrolled: 2-line block ×3, first 2 shown]
	v_lshl_add_u32 v68, v68, 1, v68
	v_add_f64_e32 v[8:9], v[28:29], v[8:9]
	v_add_f64_e32 v[10:11], v[30:31], v[10:11]
	;; [unrolled: 1-line block ×6, first 2 shown]
	v_fma_f64 v[194:195], v[156:157], s[26:27], v[136:137]
	v_fma_f64 v[196:197], v[128:129], s[20:21], -v[176:177]
	v_fma_f64 v[198:199], v[156:157], s[40:41], v[180:181]
	v_fma_f64 v[200:201], v[128:129], s[24:25], -v[184:185]
	;; [unrolled: 2-line block ×3, first 2 shown]
	v_sub_nc_u32_e32 v68, v69, v68
	v_fma_f64 v[206:207], v[150:151], s[12:13], v[122:123]
	s_delay_alu instid0(VALU_DEP_2) | instskip(SKIP_1) | instid1(VALU_DEP_2)
	v_mul_u32_u24_e32 v68, 0x186, v68
	v_fma_f64 v[210:211], v[150:151], s[36:37], v[130:131]
	v_lshlrev_b32_e32 v68, 4, v68
	v_add_f64_e32 v[8:9], v[86:87], v[8:9]
	v_add_f64_e32 v[10:11], v[96:97], v[10:11]
	;; [unrolled: 1-line block ×9, first 2 shown]
	v_mul_f64_e32 v[106:107], s[40:41], v[144:145]
	v_add_f64_e32 v[8:9], v[110:111], v[8:9]
	v_add_f64_e32 v[10:11], v[114:115], v[10:11]
	v_add_f64_e32 v[20:21], v[124:125], v[20:21]
	v_add_f64_e32 v[22:23], v[162:163], v[22:23]
	v_add_f64_e32 v[24:25], v[190:191], v[24:25]
	v_add_f64_e32 v[26:27], v[192:193], v[26:27]
	v_add_f64_e64 v[162:163], v[54:55], -v[46:47]
	v_mul_f64_e32 v[100:101], s[24:25], v[86:87]
	v_mul_f64_e32 v[108:109], s[20:21], v[86:87]
	;; [unrolled: 1-line block ×5, first 2 shown]
	v_fma_f64 v[190:191], v[150:151], s[28:29], v[116:117]
	v_fma_f64 v[192:193], v[98:99], s[14:15], -v[118:119]
	v_fma_f64 v[208:209], v[98:99], s[6:7], -v[126:127]
	;; [unrolled: 1-line block ×3, first 2 shown]
	v_add_f64_e32 v[8:9], v[194:195], v[8:9]
	v_add_f64_e32 v[10:11], v[196:197], v[10:11]
	;; [unrolled: 1-line block ×6, first 2 shown]
	v_fma_f64 v[196:197], v[96:97], s[24:25], -v[106:107]
	v_fma_f64 v[194:195], v[162:163], s[40:41], v[100:101]
	v_fma_f64 v[198:199], v[162:163], s[30:31], v[108:109]
	v_fma_f64 v[200:201], v[96:97], s[20:21], -v[110:111]
	v_fma_f64 v[202:203], v[162:163], s[34:35], v[114:115]
	v_fma_f64 v[204:205], v[96:97], s[6:7], -v[124:125]
	v_add_f64_e32 v[8:9], v[190:191], v[8:9]
	v_add_f64_e32 v[10:11], v[192:193], v[10:11]
	;; [unrolled: 1-line block ×12, first 2 shown]
	v_cmpx_gt_u32_e32 30, v67
	s_cbranch_execz .LBB0_14
; %bb.13:
	v_add_f64_e32 v[38:39], v[38:39], v[30:31]
	v_add_f64_e32 v[36:37], v[36:37], v[28:29]
	v_mul_f64_e32 v[194:195], s[40:41], v[156:157]
	v_mul_f64_e32 v[196:197], s[40:41], v[162:163]
	;; [unrolled: 1-line block ×10, first 2 shown]
	v_add_f64_e32 v[38:39], v[42:43], v[38:39]
	v_add_f64_e32 v[36:37], v[40:41], v[36:37]
	v_mul_f64_e32 v[40:41], s[6:7], v[80:81]
	v_mul_f64_e32 v[42:43], s[16:17], v[78:79]
	v_add_f64_e64 v[180:181], v[180:181], -v[194:195]
	v_fma_f64 v[194:195], v[70:71], s[24:25], v[200:201]
	v_fma_f64 v[200:201], v[70:71], s[24:25], -v[200:201]
	v_add_f64_e64 v[100:101], v[100:101], -v[196:197]
	v_fma_f64 v[208:209], v[80:81], s[20:21], -v[190:191]
	v_fma_f64 v[190:191], v[80:81], s[20:21], v[190:191]
	v_fma_f64 v[210:211], v[72:73], s[20:21], v[192:193]
	v_fma_f64 v[192:193], v[72:73], s[20:21], -v[192:193]
	v_add_f64_e64 v[82:83], v[82:83], -v[206:207]
	v_mul_f64_e32 v[206:207], s[24:25], v[128:129]
	v_add_f64_e32 v[172:173], v[212:213], v[172:173]
	v_mul_f64_e32 v[212:213], s[10:11], v[140:141]
	v_add_f64_e32 v[38:39], v[50:51], v[38:39]
	v_add_f64_e32 v[36:37], v[48:49], v[36:37]
	v_mul_f64_e32 v[50:51], s[10:11], v[78:79]
	v_mul_f64_e32 v[48:49], s[14:15], v[80:81]
	v_add_f64_e32 v[40:41], v[40:41], v[84:85]
	v_add_f64_e64 v[42:43], v[88:89], -v[42:43]
	v_add_f64_e32 v[208:209], v[30:31], v[208:209]
	v_add_f64_e32 v[190:191], v[30:31], v[190:191]
	;; [unrolled: 1-line block ×6, first 2 shown]
	v_mul_f64_e32 v[206:207], s[12:13], v[166:167]
	v_add_f64_e64 v[120:121], v[120:121], -v[212:213]
	v_add_f64_e32 v[38:39], v[58:59], v[38:39]
	v_add_f64_e32 v[36:37], v[56:57], v[36:37]
	v_mul_f64_e32 v[56:57], s[22:23], v[76:77]
	v_mul_f64_e32 v[58:59], s[22:23], v[78:79]
	v_add_f64_e64 v[50:51], v[170:171], -v[50:51]
	v_add_f64_e32 v[48:49], v[48:49], v[92:93]
	v_mul_f64_e32 v[170:171], s[26:27], v[140:141]
	v_mul_f64_e32 v[92:93], s[22:23], v[140:141]
	v_add_f64_e32 v[42:43], v[28:29], v[42:43]
	v_add_f64_e32 v[40:41], v[30:31], v[40:41]
	;; [unrolled: 1-line block ×3, first 2 shown]
	v_mul_f64_e32 v[120:121], s[10:11], v[150:151]
	v_add_f64_e32 v[38:39], v[62:63], v[38:39]
	v_add_f64_e32 v[36:37], v[60:61], v[36:37]
	v_mul_f64_e32 v[62:63], s[40:41], v[166:167]
	s_mov_b32 s41, 0xbfddbe06
	v_mul_f64_e32 v[60:61], s[2:3], v[80:81]
	s_wait_alu 0xfffe
	v_mul_f64_e32 v[76:77], s[40:41], v[76:77]
	v_mul_f64_e32 v[78:79], s[40:41], v[78:79]
	v_add_f64_e32 v[50:51], v[28:29], v[50:51]
	v_add_f64_e32 v[48:49], v[30:31], v[48:49]
	v_add_f64_e64 v[158:159], v[158:159], -v[170:171]
	v_mul_f64_e32 v[170:171], s[12:13], v[148:149]
	v_add_f64_e64 v[92:93], v[142:143], -v[92:93]
	v_add_f64_e32 v[38:39], v[54:55], v[38:39]
	v_add_f64_e32 v[36:37], v[52:53], v[36:37]
	v_fma_f64 v[52:53], v[80:81], s[18:19], -v[56:57]
	v_fma_f64 v[56:57], v[80:81], s[18:19], v[56:57]
	v_fma_f64 v[54:55], v[72:73], s[18:19], v[58:59]
	v_fma_f64 v[84:85], v[80:81], s[24:25], -v[76:77]
	v_fma_f64 v[76:77], v[80:81], s[24:25], v[76:77]
	v_mul_f64_e32 v[80:81], s[16:17], v[156:157]
	v_fma_f64 v[58:59], v[72:73], s[18:19], -v[58:59]
	v_fma_f64 v[88:89], v[72:73], s[24:25], v[78:79]
	v_fma_f64 v[72:73], v[72:73], s[24:25], -v[78:79]
	v_mul_f64_e32 v[78:79], s[20:21], v[104:105]
	v_add_f64_e32 v[60:61], v[60:61], v[178:179]
	v_mul_f64_e32 v[178:179], s[18:19], v[104:105]
	v_add_f64_e64 v[62:63], v[174:175], -v[62:63]
	v_mul_f64_e32 v[174:175], s[22:23], v[166:167]
	v_add_f64_e32 v[42:43], v[92:93], v[42:43]
	v_add_f64_e32 v[50:51], v[158:159], v[50:51]
	v_mul_f64_e32 v[158:159], s[18:19], v[98:99]
	v_mul_f64_e32 v[92:93], s[30:31], v[162:163]
	v_add_f64_e32 v[38:39], v[46:47], v[38:39]
	v_add_f64_e32 v[36:37], v[44:45], v[36:37]
	v_mul_f64_e32 v[46:47], s[24:25], v[146:147]
	v_mul_f64_e32 v[44:45], s[14:15], v[128:129]
	v_add_f64_e32 v[54:55], v[28:29], v[54:55]
	v_add_f64_e32 v[52:53], v[30:31], v[52:53]
	;; [unrolled: 1-line block ×3, first 2 shown]
	v_add_f64_e64 v[80:81], v[186:187], -v[80:81]
	v_mul_f64_e32 v[186:187], s[2:3], v[104:105]
	v_add_f64_e32 v[58:59], v[28:29], v[58:59]
	v_add_f64_e32 v[88:89], v[28:29], v[88:89]
	;; [unrolled: 1-line block ×3, first 2 shown]
	v_mul_f64_e32 v[72:73], s[18:19], v[146:147]
	v_add_f64_e32 v[78:79], v[78:79], v[164:165]
	v_mul_f64_e32 v[164:165], s[28:29], v[140:141]
	v_add_f64_e32 v[60:61], v[30:31], v[60:61]
	v_add_f64_e32 v[84:85], v[30:31], v[84:85]
	;; [unrolled: 1-line block ×3, first 2 shown]
	v_mul_f64_e32 v[76:77], s[38:39], v[166:167]
	v_mul_f64_e32 v[140:141], s[12:13], v[140:141]
	v_add_f64_e32 v[152:153], v[178:179], v[152:153]
	v_fma_f64 v[178:179], v[104:105], s[24:25], -v[198:199]
	v_fma_f64 v[198:199], v[104:105], s[24:25], v[198:199]
	v_add_f64_e64 v[154:155], v[154:155], -v[174:175]
	v_fma_f64 v[174:175], v[102:103], s[6:7], v[206:207]
	v_fma_f64 v[206:207], v[102:103], s[6:7], -v[206:207]
	v_add_f64_e32 v[50:51], v[62:63], v[50:51]
	v_add_f64_e32 v[138:139], v[158:159], v[138:139]
	v_add_f64_e64 v[92:93], v[108:109], -v[92:93]
	v_add_f64_e32 v[34:35], v[34:35], v[38:39]
	v_add_f64_e32 v[32:33], v[32:33], v[36:37]
	v_mul_f64_e32 v[36:37], s[20:21], v[128:129]
	v_add_f64_e32 v[46:47], v[46:47], v[182:183]
	v_mul_f64_e32 v[182:183], s[28:29], v[74:75]
	v_mul_f64_e32 v[38:39], s[30:31], v[148:149]
	v_add_f64_e32 v[44:45], v[44:45], v[188:189]
	v_mul_f64_e32 v[188:189], s[30:31], v[166:167]
	v_mul_f64_e32 v[148:149], s[16:17], v[148:149]
	;; [unrolled: 1-line block ×4, first 2 shown]
	v_add_f64_e32 v[132:133], v[186:187], v[132:133]
	v_add_f64_e32 v[72:73], v[72:73], v[160:161]
	v_fma_f64 v[186:187], v[146:147], s[6:7], -v[170:171]
	v_fma_f64 v[160:161], v[70:71], s[14:15], v[164:165]
	v_fma_f64 v[164:165], v[70:71], s[14:15], -v[164:165]
	v_fma_f64 v[170:171], v[146:147], s[6:7], v[170:171]
	v_add_f64_e32 v[58:59], v[200:201], v[58:59]
	v_add_f64_e64 v[76:77], v[168:169], -v[76:77]
	v_mul_f64_e32 v[200:201], s[26:27], v[156:157]
	v_add_f64_e32 v[60:61], v[78:79], v[60:61]
	v_add_f64_e32 v[52:53], v[178:179], v[52:53]
	v_mul_f64_e32 v[178:179], s[34:35], v[156:157]
	v_add_f64_e32 v[54:55], v[194:195], v[54:55]
	v_add_f64_e32 v[56:57], v[198:199], v[56:57]
	;; [unrolled: 1-line block ×3, first 2 shown]
	v_mul_f64_e32 v[194:195], s[36:37], v[134:135]
	v_mul_f64_e32 v[198:199], s[36:37], v[156:157]
	;; [unrolled: 1-line block ×5, first 2 shown]
	v_add_f64_e32 v[18:19], v[18:19], v[34:35]
	v_add_f64_e32 v[16:17], v[16:17], v[32:33]
	;; [unrolled: 1-line block ×3, first 2 shown]
	v_fma_f64 v[176:177], v[104:105], s[14:15], -v[182:183]
	v_fma_f64 v[182:183], v[104:105], s[14:15], v[182:183]
	v_fma_f64 v[168:169], v[146:147], s[20:21], -v[38:39]
	v_fma_f64 v[142:143], v[102:103], s[20:21], v[188:189]
	v_fma_f64 v[38:39], v[146:147], s[20:21], v[38:39]
	v_fma_f64 v[188:189], v[102:103], s[20:21], -v[188:189]
	v_fma_f64 v[212:213], v[146:147], s[14:15], -v[148:149]
	v_fma_f64 v[146:147], v[146:147], s[14:15], v[148:149]
	v_fma_f64 v[148:149], v[104:105], s[6:7], -v[74:75]
	v_fma_f64 v[74:75], v[104:105], s[6:7], v[74:75]
	v_fma_f64 v[104:105], v[102:103], s[14:15], v[166:167]
	v_fma_f64 v[102:103], v[102:103], s[14:15], -v[166:167]
	v_fma_f64 v[166:167], v[70:71], s[6:7], v[140:141]
	v_fma_f64 v[69:70], v[70:71], s[6:7], -v[140:141]
	v_add_f64_e32 v[40:41], v[132:133], v[40:41]
	v_mul_f64_e32 v[140:141], s[34:35], v[134:135]
	v_add_f64_e32 v[164:165], v[164:165], v[192:193]
	v_add_f64_e32 v[160:161], v[160:161], v[210:211]
	v_mul_f64_e32 v[134:135], s[10:11], v[134:135]
	v_mul_f64_e32 v[210:211], s[14:15], v[98:99]
	v_add_f64_e64 v[136:137], v[136:137], -v[200:201]
	v_add_f64_e32 v[46:47], v[46:47], v[60:61]
	v_add_f64_e32 v[60:61], v[154:155], v[82:83]
	v_mul_f64_e32 v[192:193], s[6:7], v[98:99]
	v_mul_f64_e32 v[132:133], s[10:11], v[112:113]
	v_add_f64_e32 v[48:49], v[172:173], v[48:49]
	v_add_f64_e32 v[42:43], v[76:77], v[42:43]
	v_mul_f64_e32 v[112:113], s[30:31], v[112:113]
	v_fma_f64 v[82:83], v[90:91], s[2:3], v[120:121]
	v_add_f64_e64 v[78:79], v[130:131], -v[78:79]
	v_add_f64_e32 v[106:107], v[152:153], v[106:107]
	v_add_f64_e32 v[14:15], v[14:15], v[18:19]
	;; [unrolled: 1-line block ×5, first 2 shown]
	v_mul_f64_e32 v[208:209], s[28:29], v[150:151]
	v_mul_f64_e32 v[190:191], s[12:13], v[150:151]
	v_add_f64_e32 v[52:53], v[168:169], v[52:53]
	v_add_f64_e32 v[54:55], v[142:143], v[54:55]
	;; [unrolled: 1-line block ×6, first 2 shown]
	v_fma_f64 v[74:75], v[94:95], s[6:7], v[178:179]
	v_fma_f64 v[178:179], v[94:95], s[6:7], -v[178:179]
	v_add_f64_e32 v[88:89], v[166:167], v[88:89]
	v_add_f64_e32 v[28:29], v[69:70], v[28:29]
	;; [unrolled: 1-line block ×3, first 2 shown]
	v_fma_f64 v[148:149], v[128:129], s[6:7], -v[140:141]
	v_fma_f64 v[140:141], v[128:129], s[6:7], v[140:141]
	v_fma_f64 v[166:167], v[128:129], s[18:19], -v[194:195]
	v_fma_f64 v[69:70], v[94:95], s[18:19], v[198:199]
	v_fma_f64 v[194:195], v[128:129], s[18:19], v[194:195]
	v_fma_f64 v[198:199], v[94:95], s[18:19], -v[198:199]
	v_add_f64_e32 v[62:63], v[206:207], v[164:165]
	v_add_f64_e32 v[71:72], v[174:175], v[160:161]
	v_fma_f64 v[200:201], v[128:129], s[2:3], -v[134:135]
	v_fma_f64 v[128:129], v[128:129], s[2:3], v[134:135]
	v_fma_f64 v[134:135], v[94:95], s[2:3], v[156:157]
	v_fma_f64 v[94:95], v[94:95], s[2:3], -v[156:157]
	v_mul_f64_e32 v[150:151], s[30:31], v[150:151]
	v_add_f64_e32 v[118:119], v[210:211], v[118:119]
	v_mul_f64_e32 v[156:157], s[20:21], v[96:97]
	v_mul_f64_e32 v[56:57], s[28:29], v[144:145]
	v_fma_f64 v[34:35], v[98:99], s[2:3], -v[132:133]
	v_add_f64_e32 v[126:127], v[192:193], v[126:127]
	v_add_f64_e32 v[44:45], v[44:45], v[46:47]
	v_add_f64_e32 v[46:47], v[184:185], v[48:49]
	v_add_f64_e32 v[42:43], v[180:181], v[42:43]
	v_mul_f64_e32 v[168:169], s[34:35], v[162:163]
	v_mul_f64_e32 v[142:143], s[6:7], v[96:97]
	v_add_f64_e32 v[176:177], v[186:187], v[176:177]
	v_add_f64_e32 v[170:171], v[170:171], v[182:183]
	v_add_f64_e64 v[116:117], v[116:117], -v[208:209]
	v_add_f64_e64 v[122:123], v[122:123], -v[190:191]
	v_mul_f64_e32 v[188:189], s[28:29], v[162:163]
	v_add_f64_e32 v[48:49], v[80:81], v[50:51]
	v_mul_f64_e32 v[186:187], s[10:11], v[144:145]
	v_mul_f64_e32 v[182:183], s[10:11], v[162:163]
	v_add_f64_e32 v[76:77], v[212:213], v[84:85]
	v_add_f64_e32 v[30:31], v[146:147], v[30:31]
	v_fma_f64 v[84:85], v[98:99], s[2:3], v[132:133]
	v_add_f64_e32 v[54:55], v[74:75], v[54:55]
	v_add_f64_e32 v[32:33], v[104:105], v[88:89]
	;; [unrolled: 1-line block ×7, first 2 shown]
	v_fma_f64 v[88:89], v[90:91], s[2:3], -v[120:121]
	v_fma_f64 v[102:103], v[98:99], s[24:25], -v[202:203]
	v_fma_f64 v[120:121], v[98:99], s[24:25], v[202:203]
	v_fma_f64 v[132:133], v[90:91], s[24:25], -v[204:205]
	v_fma_f64 v[130:131], v[98:99], s[20:21], -v[112:113]
	v_fma_f64 v[98:99], v[98:99], s[20:21], v[112:113]
	v_add_f64_e32 v[58:59], v[178:179], v[58:59]
	v_add_f64_e32 v[50:51], v[198:199], v[62:63]
	v_fma_f64 v[104:105], v[90:91], s[24:25], v[204:205]
	v_add_f64_e32 v[60:61], v[69:70], v[71:72]
	v_mul_f64_e32 v[144:145], s[22:23], v[144:145]
	v_mul_f64_e32 v[162:163], s[22:23], v[162:163]
	v_fma_f64 v[146:147], v[90:91], s[20:21], v[150:151]
	v_fma_f64 v[90:91], v[90:91], s[20:21], -v[150:151]
	v_add_f64_e32 v[110:111], v[156:157], v[110:111]
	v_add_f64_e32 v[44:45], v[138:139], v[44:45]
	;; [unrolled: 1-line block ×3, first 2 shown]
	v_add_f64_e64 v[114:115], v[114:115], -v[168:169]
	v_add_f64_e32 v[124:125], v[142:143], v[124:125]
	v_add_f64_e32 v[73:74], v[166:167], v[176:177]
	;; [unrolled: 1-line block ×3, first 2 shown]
	v_fma_f64 v[69:70], v[86:87], s[14:15], -v[188:189]
	v_add_f64_e32 v[48:49], v[78:79], v[48:49]
	v_fma_f64 v[80:81], v[96:97], s[2:3], v[186:187]
	v_fma_f64 v[71:72], v[96:97], s[2:3], -v[186:187]
	v_add_f64_e32 v[62:63], v[200:201], v[76:77]
	v_add_f64_e32 v[30:31], v[128:129], v[30:31]
	v_fma_f64 v[75:76], v[86:87], s[2:3], v[182:183]
	v_add_f64_e32 v[18:19], v[134:135], v[32:33]
	v_add_f64_e32 v[16:17], v[94:95], v[28:29]
	;; [unrolled: 1-line block ×4, first 2 shown]
	v_fma_f64 v[28:29], v[96:97], s[14:15], -v[56:57]
	v_fma_f64 v[56:57], v[96:97], s[14:15], v[56:57]
	v_add_f64_e32 v[34:35], v[34:35], v[52:53]
	v_add_f64_e32 v[52:53], v[82:83], v[54:55]
	;; [unrolled: 1-line block ×4, first 2 shown]
	v_fma_f64 v[32:33], v[86:87], s[14:15], v[188:189]
	v_fma_f64 v[94:95], v[86:87], s[2:3], -v[182:183]
	v_add_f64_e32 v[54:55], v[88:89], v[58:59]
	v_add_f64_e32 v[50:51], v[132:133], v[50:51]
	;; [unrolled: 1-line block ×5, first 2 shown]
	v_fma_f64 v[108:109], v[96:97], s[18:19], -v[144:145]
	v_fma_f64 v[128:129], v[86:87], s[18:19], v[162:163]
	v_fma_f64 v[96:97], v[96:97], s[18:19], v[144:145]
	v_fma_f64 v[86:87], v[86:87], s[18:19], -v[162:163]
	v_add_f64_e32 v[58:59], v[102:103], v[73:74]
	v_add_f64_e32 v[73:74], v[120:121], v[112:113]
	;; [unrolled: 1-line block ×20, first 2 shown]
	v_mul_u32_u24_e32 v52, 0xd0, v67
	s_delay_alu instid0(VALU_DEP_1)
	v_add3_u32 v52, 0, v52, v68
	v_add_f64_e32 v[18:19], v[71:72], v[58:59]
	v_add_f64_e32 v[30:31], v[80:81], v[73:74]
	;; [unrolled: 1-line block ×6, first 2 shown]
	ds_store_b128 v52, v[20:23] offset:160
	ds_store_b128 v52, v[24:27] offset:176
	;; [unrolled: 1-line block ×10, first 2 shown]
	ds_store_b128 v52, v[0:3]
	ds_store_b128 v52, v[48:51] offset:16
	ds_store_b128 v52, v[44:47] offset:192
.LBB0_14:
	s_wait_alu 0xfffe
	s_or_b32 exec_lo, exec_lo, s1
	v_lshlrev_b32_e32 v0, 4, v67
	global_wb scope:SCOPE_SE
	s_wait_dscnt 0x0
	s_barrier_signal -1
	s_barrier_wait -1
	global_inv scope:SCOPE_SE
	v_add3_u32 v48, 0, v68, v0
	v_add3_u32 v49, 0, v0, v68
	v_cmp_gt_u32_e64 s0, 13, v67
	ds_load_b128 v[12:15], v48
	ds_load_b128 v[0:3], v49 offset:624
	ds_load_b128 v[36:39], v49 offset:4160
	;; [unrolled: 1-line block ×8, first 2 shown]
	s_and_saveexec_b32 s1, s0
	s_cbranch_execz .LBB0_16
; %bb.15:
	ds_load_b128 v[8:11], v49 offset:1872
	ds_load_b128 v[20:23], v49 offset:3952
	ds_load_b128 v[24:27], v49 offset:6032
.LBB0_16:
	s_wait_alu 0xfffe
	s_or_b32 exec_lo, exec_lo, s1
	v_add_nc_u16 v50, v67, 39
	v_and_b32_e32 v51, 0xff, v67
	v_add_nc_u16 v52, v67, 0x4e
	s_mov_b32 s2, 0xe8584caa
	s_mov_b32 s3, 0x3febb67a
	v_and_b32_e32 v53, 0xff, v50
	v_mul_lo_u16 v51, 0x4f, v51
	v_and_b32_e32 v54, 0xff, v52
	s_mov_b32 s7, 0xbfebb67a
	s_wait_alu 0xfffe
	s_mov_b32 s6, s2
	v_mul_lo_u16 v53, 0x4f, v53
	v_lshrrev_b16 v91, 10, v51
	v_mul_lo_u16 v51, 0x4f, v54
	s_delay_alu instid0(VALU_DEP_3) | instskip(NEXT) | instid1(VALU_DEP_3)
	v_lshrrev_b16 v92, 10, v53
	v_mul_lo_u16 v53, v91, 13
	s_delay_alu instid0(VALU_DEP_3) | instskip(NEXT) | instid1(VALU_DEP_3)
	;; [unrolled: 3-line block ×3, first 2 shown]
	v_sub_nc_u16 v53, v67, v53
	v_mul_lo_u16 v54, v93, 13
	s_delay_alu instid0(VALU_DEP_3) | instskip(NEXT) | instid1(VALU_DEP_3)
	v_sub_nc_u16 v50, v50, v51
	v_and_b32_e32 v94, 0xff, v53
	s_delay_alu instid0(VALU_DEP_3) | instskip(NEXT) | instid1(VALU_DEP_3)
	v_sub_nc_u16 v51, v52, v54
	v_and_b32_e32 v95, 0xff, v50
	s_delay_alu instid0(VALU_DEP_3) | instskip(NEXT) | instid1(VALU_DEP_3)
	v_lshlrev_b32_e32 v54, 5, v94
	v_and_b32_e32 v96, 0xff, v51
	s_clause 0x1
	global_load_b128 v[50:53], v54, s[4:5]
	global_load_b128 v[54:57], v54, s[4:5] offset:16
	v_lshlrev_b32_e32 v62, 5, v95
	v_lshlrev_b32_e32 v63, 5, v96
	s_clause 0x3
	global_load_b128 v[58:61], v62, s[4:5]
	global_load_b128 v[69:72], v62, s[4:5] offset:16
	global_load_b128 v[73:76], v63, s[4:5]
	global_load_b128 v[77:80], v63, s[4:5] offset:16
	global_wb scope:SCOPE_SE
	s_wait_loadcnt_dscnt 0x0
	s_barrier_signal -1
	s_barrier_wait -1
	global_inv scope:SCOPE_SE
	v_mul_f64_e32 v[62:63], v[46:47], v[52:53]
	v_mul_f64_e32 v[81:82], v[38:39], v[56:57]
	;; [unrolled: 1-line block ×12, first 2 shown]
	v_fma_f64 v[44:45], v[44:45], v[50:51], -v[62:63]
	v_fma_f64 v[36:37], v[36:37], v[54:55], -v[81:82]
	v_fma_f64 v[46:47], v[46:47], v[50:51], v[52:53]
	v_fma_f64 v[38:39], v[38:39], v[54:55], v[56:57]
	v_fma_f64 v[40:41], v[40:41], v[58:59], -v[83:84]
	v_fma_f64 v[16:17], v[16:17], v[69:70], -v[85:86]
	v_fma_f64 v[42:43], v[42:43], v[58:59], v[60:61]
	v_fma_f64 v[18:19], v[18:19], v[69:70], v[71:72]
	;; [unrolled: 4-line block ×3, first 2 shown]
	v_add_f64_e32 v[62:63], v[12:13], v[44:45]
	v_add_f64_e32 v[50:51], v[44:45], v[36:37]
	v_add_f64_e64 v[44:45], v[44:45], -v[36:37]
	v_add_f64_e32 v[52:53], v[46:47], v[38:39]
	v_add_f64_e64 v[69:70], v[46:47], -v[38:39]
	v_add_f64_e32 v[54:55], v[40:41], v[16:17]
	v_add_f64_e32 v[46:47], v[14:15], v[46:47]
	;; [unrolled: 1-line block ×9, first 2 shown]
	v_add_f64_e64 v[42:43], v[42:43], -v[18:19]
	v_add_f64_e64 v[40:41], v[40:41], -v[16:17]
	;; [unrolled: 1-line block ×4, first 2 shown]
	v_fma_f64 v[50:51], v[50:51], -0.5, v[12:13]
	v_fma_f64 v[52:53], v[52:53], -0.5, v[14:15]
	;; [unrolled: 1-line block ×3, first 2 shown]
	v_add_f64_e32 v[0:1], v[62:63], v[36:37]
	v_fma_f64 v[56:57], v[56:57], -0.5, v[2:3]
	v_add_f64_e32 v[2:3], v[46:47], v[38:39]
	v_fma_f64 v[58:59], v[58:59], -0.5, v[4:5]
	;; [unrolled: 2-line block ×3, first 2 shown]
	v_add_f64_e32 v[6:7], v[73:74], v[18:19]
	v_add_f64_e32 v[12:13], v[75:76], v[32:33]
	;; [unrolled: 1-line block ×3, first 2 shown]
	v_fma_f64 v[16:17], v[69:70], s[2:3], v[50:51]
	s_wait_alu 0xfffe
	v_fma_f64 v[28:29], v[69:70], s[6:7], v[50:51]
	v_fma_f64 v[18:19], v[44:45], s[6:7], v[52:53]
	;; [unrolled: 1-line block ×11, first 2 shown]
	v_and_b32_e32 v50, 0xffff, v91
	v_and_b32_e32 v51, 0xffff, v92
	v_lshlrev_b32_e32 v53, 4, v94
	v_and_b32_e32 v52, 0xffff, v93
	v_lshlrev_b32_e32 v54, 4, v96
	v_mad_u32_u24 v50, 0x270, v50, 0
	v_mad_u32_u24 v51, 0x270, v51, 0
	s_delay_alu instid0(VALU_DEP_4) | instskip(NEXT) | instid1(VALU_DEP_3)
	v_mad_u32_u24 v52, 0x270, v52, 0
	v_add3_u32 v50, v50, v53, v68
	v_lshlrev_b32_e32 v53, 4, v95
	s_delay_alu instid0(VALU_DEP_3) | instskip(NEXT) | instid1(VALU_DEP_2)
	v_add3_u32 v52, v52, v54, v68
	v_add3_u32 v51, v51, v53, v68
	ds_store_b128 v50, v[0:3]
	ds_store_b128 v50, v[16:19] offset:208
	ds_store_b128 v50, v[28:31] offset:416
	ds_store_b128 v51, v[4:7]
	ds_store_b128 v51, v[32:35] offset:208
	ds_store_b128 v51, v[36:39] offset:416
	;; [unrolled: 3-line block ×3, first 2 shown]
	s_and_saveexec_b32 s1, s0
	s_cbranch_execz .LBB0_18
; %bb.17:
	v_add_nc_u16 v0, v67, 0x75
	s_delay_alu instid0(VALU_DEP_1) | instskip(NEXT) | instid1(VALU_DEP_1)
	v_and_b32_e32 v1, 0xff, v0
	v_mul_lo_u16 v1, 0x4f, v1
	s_delay_alu instid0(VALU_DEP_1) | instskip(NEXT) | instid1(VALU_DEP_1)
	v_lshrrev_b16 v1, 10, v1
	v_mul_lo_u16 v1, v1, 13
	s_delay_alu instid0(VALU_DEP_1) | instskip(NEXT) | instid1(VALU_DEP_1)
	v_sub_nc_u16 v0, v0, v1
	v_and_b32_e32 v28, 0xff, v0
	s_delay_alu instid0(VALU_DEP_1)
	v_lshlrev_b32_e32 v4, 5, v28
	s_clause 0x1
	global_load_b128 v[0:3], v4, s[4:5]
	global_load_b128 v[4:7], v4, s[4:5] offset:16
	s_wait_loadcnt 0x1
	v_mul_f64_e32 v[12:13], v[20:21], v[2:3]
	s_wait_loadcnt 0x0
	v_mul_f64_e32 v[14:15], v[24:25], v[6:7]
	v_mul_f64_e32 v[2:3], v[22:23], v[2:3]
	;; [unrolled: 1-line block ×3, first 2 shown]
	s_delay_alu instid0(VALU_DEP_4) | instskip(NEXT) | instid1(VALU_DEP_4)
	v_fma_f64 v[12:13], v[22:23], v[0:1], v[12:13]
	v_fma_f64 v[14:15], v[26:27], v[4:5], v[14:15]
	s_delay_alu instid0(VALU_DEP_4) | instskip(NEXT) | instid1(VALU_DEP_4)
	v_fma_f64 v[0:1], v[20:21], v[0:1], -v[2:3]
	v_fma_f64 v[4:5], v[24:25], v[4:5], -v[6:7]
	s_delay_alu instid0(VALU_DEP_4) | instskip(NEXT) | instid1(VALU_DEP_4)
	v_add_f64_e32 v[18:19], v[10:11], v[12:13]
	v_add_f64_e32 v[2:3], v[12:13], v[14:15]
	v_add_f64_e64 v[12:13], v[12:13], -v[14:15]
	s_delay_alu instid0(VALU_DEP_4)
	v_add_f64_e32 v[6:7], v[0:1], v[4:5]
	v_add_f64_e64 v[16:17], v[0:1], -v[4:5]
	v_add_f64_e32 v[0:1], v[8:9], v[0:1]
	v_fma_f64 v[10:11], v[2:3], -0.5, v[10:11]
	v_add_f64_e32 v[2:3], v[18:19], v[14:15]
	v_fma_f64 v[20:21], v[6:7], -0.5, v[8:9]
	s_delay_alu instid0(VALU_DEP_4) | instskip(NEXT) | instid1(VALU_DEP_4)
	v_add_f64_e32 v[0:1], v[0:1], v[4:5]
	v_fma_f64 v[6:7], v[16:17], s[2:3], v[10:11]
	v_fma_f64 v[10:11], v[16:17], s[6:7], v[10:11]
	s_delay_alu instid0(VALU_DEP_4) | instskip(SKIP_2) | instid1(VALU_DEP_1)
	v_fma_f64 v[8:9], v[12:13], s[2:3], v[20:21]
	v_fma_f64 v[4:5], v[12:13], s[6:7], v[20:21]
	v_lshlrev_b32_e32 v12, 4, v28
	v_add3_u32 v12, 0, v12, v68
	ds_store_b128 v12, v[0:3] offset:5616
	ds_store_b128 v12, v[8:11] offset:5824
	;; [unrolled: 1-line block ×3, first 2 shown]
.LBB0_18:
	s_wait_alu 0xfffe
	s_or_b32 exec_lo, exec_lo, s1
	global_wb scope:SCOPE_SE
	s_wait_dscnt 0x0
	s_barrier_signal -1
	s_barrier_wait -1
	global_inv scope:SCOPE_SE
	s_and_saveexec_b32 s0, vcc_lo
	s_cbranch_execz .LBB0_20
; %bb.19:
	v_mul_u32_u24_e32 v0, 9, v67
	s_mov_b32 s0, 0x134454ff
	s_mov_b32 s1, 0x3fee6f0e
	;; [unrolled: 1-line block ×3, first 2 shown]
	s_wait_alu 0xfffe
	s_mov_b32 s2, s0
	v_lshlrev_b32_e32 v32, 4, v0
	s_mov_b32 s7, 0xbfe2cf23
	s_mov_b32 s10, 0x372fe950
	;; [unrolled: 1-line block ×4, first 2 shown]
	s_clause 0x8
	global_load_b128 v[0:3], v32, s[4:5] offset:448
	global_load_b128 v[4:7], v32, s[4:5] offset:480
	;; [unrolled: 1-line block ×9, first 2 shown]
	ds_load_b128 v[36:39], v49 offset:1872
	ds_load_b128 v[40:43], v49 offset:3120
	ds_load_b128 v[44:47], v49 offset:4368
	ds_load_b128 v[50:53], v49 offset:5616
	s_mov_b32 s4, 0x4755a5e
	s_mov_b32 s5, 0x3fe2cf23
	;; [unrolled: 1-line block ×4, first 2 shown]
	s_wait_loadcnt_dscnt 0x803
	v_mul_f64_e32 v[56:57], v[2:3], v[38:39]
	v_mul_f64_e32 v[38:39], v[0:1], v[38:39]
	s_wait_loadcnt_dscnt 0x702
	v_mul_f64_e32 v[58:59], v[4:5], v[42:43]
	s_wait_loadcnt_dscnt 0x601
	;; [unrolled: 2-line block ×3, first 2 shown]
	v_mul_f64_e32 v[62:63], v[12:13], v[52:53]
	v_mul_f64_e32 v[67:68], v[14:15], v[52:53]
	;; [unrolled: 1-line block ×4, first 2 shown]
	ds_load_b128 v[52:55], v49 offset:624
	s_wait_loadcnt_dscnt 0x400
	v_mul_f64_e32 v[69:70], v[18:19], v[54:55]
	v_mul_f64_e32 v[54:55], v[16:17], v[54:55]
	v_fma_f64 v[56:57], v[0:1], v[36:37], -v[56:57]
	v_fma_f64 v[36:37], v[36:37], v[2:3], v[38:39]
	v_fma_f64 v[38:39], v[40:41], v[6:7], v[58:59]
	v_fma_f64 v[58:59], v[44:45], v[10:11], v[60:61]
	v_fma_f64 v[60:61], v[50:51], v[14:15], v[62:63]
	v_fma_f64 v[50:51], v[12:13], v[50:51], -v[67:68]
	v_fma_f64 v[40:41], v[4:5], v[40:41], -v[42:43]
	;; [unrolled: 1-line block ×3, first 2 shown]
	ds_load_b128 v[0:3], v49 offset:2496
	ds_load_b128 v[4:7], v49 offset:3744
	;; [unrolled: 1-line block ×4, first 2 shown]
	s_wait_loadcnt_dscnt 0x303
	v_mul_f64_e32 v[44:45], v[20:21], v[2:3]
	s_wait_loadcnt_dscnt 0x202
	v_mul_f64_e32 v[46:47], v[24:25], v[6:7]
	s_wait_loadcnt_dscnt 0x101
	v_mul_f64_e32 v[62:63], v[28:29], v[10:11]
	s_wait_loadcnt_dscnt 0x0
	v_mul_f64_e32 v[67:68], v[32:33], v[14:15]
	v_mul_f64_e32 v[2:3], v[22:23], v[2:3]
	v_mul_f64_e32 v[6:7], v[26:27], v[6:7]
	;; [unrolled: 1-line block ×3, first 2 shown]
	v_fma_f64 v[16:17], v[16:17], v[52:53], -v[69:70]
	v_fma_f64 v[18:19], v[52:53], v[18:19], v[54:55]
	v_mul_f64_e32 v[14:15], v[34:35], v[14:15]
	v_add_f64_e32 v[52:53], v[38:39], v[58:59]
	v_add_f64_e32 v[54:55], v[36:37], v[60:61]
	;; [unrolled: 1-line block ×3, first 2 shown]
	v_add_f64_e64 v[73:74], v[58:59], -v[60:61]
	v_add_f64_e32 v[71:72], v[40:41], v[42:43]
	v_add_f64_e64 v[85:86], v[56:57], -v[40:41]
	v_add_f64_e64 v[87:88], v[50:51], -v[42:43]
	v_fma_f64 v[22:23], v[22:23], v[0:1], v[44:45]
	v_fma_f64 v[26:27], v[26:27], v[4:5], v[46:47]
	;; [unrolled: 1-line block ×4, first 2 shown]
	v_fma_f64 v[20:21], v[0:1], v[20:21], -v[2:3]
	v_fma_f64 v[4:5], v[4:5], v[24:25], -v[6:7]
	;; [unrolled: 1-line block ×3, first 2 shown]
	v_add_f64_e64 v[8:9], v[38:39], -v[58:59]
	v_add_f64_e64 v[24:25], v[56:57], -v[50:51]
	v_fma_f64 v[12:13], v[12:13], v[32:33], -v[14:15]
	v_add_f64_e64 v[14:15], v[36:37], -v[60:61]
	v_add_f64_e64 v[10:11], v[40:41], -v[42:43]
	ds_load_b128 v[0:3], v48
	v_add_f64_e64 v[67:68], v[40:41], -v[56:57]
	v_fma_f64 v[28:29], v[52:53], -0.5, v[18:19]
	v_fma_f64 v[44:45], v[54:55], -0.5, v[18:19]
	;; [unrolled: 1-line block ×3, first 2 shown]
	v_add_f64_e64 v[52:53], v[36:37], -v[38:39]
	v_fma_f64 v[32:33], v[71:72], -0.5, v[16:17]
	v_add_f64_e64 v[54:55], v[60:61], -v[58:59]
	v_add_f64_e64 v[69:70], v[42:43], -v[50:51]
	;; [unrolled: 1-line block ×3, first 2 shown]
	v_add_f64_e32 v[18:19], v[36:37], v[18:19]
	v_add_f64_e32 v[16:17], v[56:57], v[16:17]
	v_add_f64_e32 v[48:49], v[22:23], v[26:27]
	s_wait_dscnt 0x0
	v_add_f64_e32 v[95:96], v[30:31], v[2:3]
	v_add_f64_e32 v[62:63], v[30:31], v[34:35]
	v_add_f64_e64 v[36:37], v[30:31], -v[34:35]
	v_add_f64_e32 v[75:76], v[20:21], v[4:5]
	v_add_f64_e32 v[99:100], v[6:7], v[0:1]
	v_add_f64_e64 v[97:98], v[22:23], -v[26:27]
	v_add_f64_e64 v[91:92], v[20:21], -v[4:5]
	v_add_f64_e32 v[83:84], v[6:7], v[12:13]
	v_add_f64_e64 v[93:94], v[6:7], -v[12:13]
	v_fma_f64 v[77:78], v[24:25], s[0:1], v[28:29]
	s_wait_alu 0xfffe
	v_fma_f64 v[28:29], v[24:25], s[2:3], v[28:29]
	v_fma_f64 v[81:82], v[8:9], s[2:3], v[46:47]
	;; [unrolled: 1-line block ×7, first 2 shown]
	v_add_f64_e32 v[52:53], v[52:53], v[54:55]
	v_add_f64_e32 v[54:55], v[67:68], v[69:70]
	;; [unrolled: 1-line block ×6, first 2 shown]
	v_fma_f64 v[48:49], v[48:49], -0.5, v[2:3]
	v_fma_f64 v[2:3], v[62:63], -0.5, v[2:3]
	;; [unrolled: 1-line block ×4, first 2 shown]
	v_fma_f64 v[67:68], v[10:11], s[4:5], v[77:78]
	v_fma_f64 v[10:11], v[10:11], s[6:7], v[28:29]
	;; [unrolled: 1-line block ×8, first 2 shown]
	v_add_f64_e64 v[28:29], v[30:31], -v[22:23]
	v_add_f64_e64 v[30:31], v[22:23], -v[30:31]
	v_add_f64_e64 v[46:47], v[6:7], -v[20:21]
	v_add_f64_e64 v[6:7], v[20:21], -v[6:7]
	v_add_f64_e32 v[22:23], v[22:23], v[95:96]
	v_add_f64_e32 v[20:21], v[20:21], v[99:100]
	v_add_f64_e64 v[32:33], v[34:35], -v[26:27]
	v_add_f64_e64 v[77:78], v[12:13], -v[4:5]
	;; [unrolled: 1-line block ×4, first 2 shown]
	v_add_f64_e32 v[18:19], v[58:59], v[18:19]
	v_add_f64_e32 v[16:17], v[42:43], v[16:17]
	v_fma_f64 v[38:39], v[93:94], s[0:1], v[48:49]
	v_fma_f64 v[48:49], v[93:94], s[2:3], v[48:49]
	;; [unrolled: 1-line block ×16, first 2 shown]
	v_add_f64_e32 v[22:23], v[26:27], v[22:23]
	v_add_f64_e32 v[4:5], v[4:5], v[20:21]
	;; [unrolled: 1-line block ×7, first 2 shown]
	v_fma_f64 v[20:21], v[91:92], s[4:5], v[38:39]
	v_fma_f64 v[38:39], v[91:92], s[6:7], v[48:49]
	;; [unrolled: 1-line block ×8, first 2 shown]
	v_mul_f64_e32 v[42:43], s[12:13], v[67:68]
	v_mul_f64_e32 v[54:55], s[4:5], v[10:11]
	;; [unrolled: 1-line block ×8, first 2 shown]
	v_add_f64_e32 v[22:23], v[34:35], v[22:23]
	v_add_f64_e32 v[4:5], v[12:13], v[4:5]
	;; [unrolled: 1-line block ×3, first 2 shown]
	v_fma_f64 v[16:17], v[28:29], s[10:11], v[20:21]
	v_fma_f64 v[38:39], v[28:29], s[10:11], v[38:39]
	;; [unrolled: 1-line block ×6, first 2 shown]
	v_fma_f64 v[8:9], v[8:9], s[6:7], -v[42:43]
	v_fma_f64 v[42:43], v[6:7], s[10:11], v[48:49]
	v_fma_f64 v[24:25], v[24:25], s[10:11], v[46:47]
	;; [unrolled: 1-line block ×4, first 2 shown]
	v_fma_f64 v[26:27], v[14:15], s[2:3], -v[44:45]
	v_fma_f64 v[44:45], v[6:7], s[10:11], v[0:1]
	v_fma_f64 v[50:51], v[71:72], s[10:11], v[56:57]
	v_fma_f64 v[52:53], v[69:70], s[0:1], -v[58:59]
	v_fma_f64 v[54:55], v[67:68], s[4:5], -v[62:63]
	v_mov_b32_e32 v67, 0
	v_add_f64_e32 v[6:7], v[22:23], v[18:19]
	v_add_f64_e64 v[2:3], v[22:23], -v[18:19]
	v_add_f64_e64 v[0:1], v[4:5], -v[12:13]
	v_add_f64_e32 v[4:5], v[4:5], v[12:13]
	v_add_f64_e32 v[22:23], v[16:17], v[8:9]
	v_add_f64_e64 v[10:11], v[16:17], -v[8:9]
	v_add_f64_e64 v[18:19], v[30:31], -v[24:25]
	v_add_f64_e32 v[32:33], v[36:37], v[48:49]
	v_add_f64_e32 v[34:35], v[38:39], v[46:47]
	v_add_f64_e32 v[30:31], v[30:31], v[24:25]
	v_add_f64_e64 v[14:15], v[20:21], -v[26:27]
	v_add_f64_e32 v[28:29], v[44:45], v[50:51]
	v_add_f64_e32 v[26:27], v[20:21], v[26:27]
	;; [unrolled: 1-line block ×4, first 2 shown]
	v_add_f64_e64 v[38:39], v[38:39], -v[46:47]
	v_add_f64_e64 v[36:37], v[36:37], -v[48:49]
	;; [unrolled: 1-line block ×5, first 2 shown]
	v_lshlrev_b64_e32 v[40:41], 4, v[64:65]
	v_lshlrev_b64_e32 v[42:43], 4, v[66:67]
	s_delay_alu instid0(VALU_DEP_2) | instskip(SKIP_1) | instid1(VALU_DEP_3)
	v_add_co_u32 v40, vcc_lo, s8, v40
	s_wait_alu 0xfffd
	v_add_co_ci_u32_e32 v41, vcc_lo, s9, v41, vcc_lo
	s_delay_alu instid0(VALU_DEP_2) | instskip(SKIP_1) | instid1(VALU_DEP_2)
	v_add_co_u32 v40, vcc_lo, v40, v42
	s_wait_alu 0xfffd
	v_add_co_ci_u32_e32 v41, vcc_lo, v41, v43, vcc_lo
	s_clause 0x9
	global_store_b128 v[40:41], v[4:7], off
	global_store_b128 v[40:41], v[32:35], off offset:624
	global_store_b128 v[40:41], v[28:31], off offset:1248
	;; [unrolled: 1-line block ×9, first 2 shown]
.LBB0_20:
	s_nop 0
	s_sendmsg sendmsg(MSG_DEALLOC_VGPRS)
	s_endpgm
	.section	.rodata,"a",@progbits
	.p2align	6, 0x0
	.amdhsa_kernel fft_rtc_fwd_len390_factors_13_3_10_wgs_117_tpt_39_dp_ip_CI_unitstride_sbrr_dirReg
		.amdhsa_group_segment_fixed_size 0
		.amdhsa_private_segment_fixed_size 0
		.amdhsa_kernarg_size 88
		.amdhsa_user_sgpr_count 2
		.amdhsa_user_sgpr_dispatch_ptr 0
		.amdhsa_user_sgpr_queue_ptr 0
		.amdhsa_user_sgpr_kernarg_segment_ptr 1
		.amdhsa_user_sgpr_dispatch_id 0
		.amdhsa_user_sgpr_private_segment_size 0
		.amdhsa_wavefront_size32 1
		.amdhsa_uses_dynamic_stack 0
		.amdhsa_enable_private_segment 0
		.amdhsa_system_sgpr_workgroup_id_x 1
		.amdhsa_system_sgpr_workgroup_id_y 0
		.amdhsa_system_sgpr_workgroup_id_z 0
		.amdhsa_system_sgpr_workgroup_info 0
		.amdhsa_system_vgpr_workitem_id 0
		.amdhsa_next_free_vgpr 214
		.amdhsa_next_free_sgpr 42
		.amdhsa_reserve_vcc 1
		.amdhsa_float_round_mode_32 0
		.amdhsa_float_round_mode_16_64 0
		.amdhsa_float_denorm_mode_32 3
		.amdhsa_float_denorm_mode_16_64 3
		.amdhsa_fp16_overflow 0
		.amdhsa_workgroup_processor_mode 1
		.amdhsa_memory_ordered 1
		.amdhsa_forward_progress 0
		.amdhsa_round_robin_scheduling 0
		.amdhsa_exception_fp_ieee_invalid_op 0
		.amdhsa_exception_fp_denorm_src 0
		.amdhsa_exception_fp_ieee_div_zero 0
		.amdhsa_exception_fp_ieee_overflow 0
		.amdhsa_exception_fp_ieee_underflow 0
		.amdhsa_exception_fp_ieee_inexact 0
		.amdhsa_exception_int_div_zero 0
	.end_amdhsa_kernel
	.text
.Lfunc_end0:
	.size	fft_rtc_fwd_len390_factors_13_3_10_wgs_117_tpt_39_dp_ip_CI_unitstride_sbrr_dirReg, .Lfunc_end0-fft_rtc_fwd_len390_factors_13_3_10_wgs_117_tpt_39_dp_ip_CI_unitstride_sbrr_dirReg
                                        ; -- End function
	.section	.AMDGPU.csdata,"",@progbits
; Kernel info:
; codeLenInByte = 7548
; NumSgprs: 44
; NumVgprs: 214
; ScratchSize: 0
; MemoryBound: 1
; FloatMode: 240
; IeeeMode: 1
; LDSByteSize: 0 bytes/workgroup (compile time only)
; SGPRBlocks: 5
; VGPRBlocks: 26
; NumSGPRsForWavesPerEU: 44
; NumVGPRsForWavesPerEU: 214
; Occupancy: 7
; WaveLimiterHint : 1
; COMPUTE_PGM_RSRC2:SCRATCH_EN: 0
; COMPUTE_PGM_RSRC2:USER_SGPR: 2
; COMPUTE_PGM_RSRC2:TRAP_HANDLER: 0
; COMPUTE_PGM_RSRC2:TGID_X_EN: 1
; COMPUTE_PGM_RSRC2:TGID_Y_EN: 0
; COMPUTE_PGM_RSRC2:TGID_Z_EN: 0
; COMPUTE_PGM_RSRC2:TIDIG_COMP_CNT: 0
	.text
	.p2alignl 7, 3214868480
	.fill 96, 4, 3214868480
	.type	__hip_cuid_aeb6241fc8cc5d5a,@object ; @__hip_cuid_aeb6241fc8cc5d5a
	.section	.bss,"aw",@nobits
	.globl	__hip_cuid_aeb6241fc8cc5d5a
__hip_cuid_aeb6241fc8cc5d5a:
	.byte	0                               ; 0x0
	.size	__hip_cuid_aeb6241fc8cc5d5a, 1

	.ident	"AMD clang version 19.0.0git (https://github.com/RadeonOpenCompute/llvm-project roc-6.4.0 25133 c7fe45cf4b819c5991fe208aaa96edf142730f1d)"
	.section	".note.GNU-stack","",@progbits
	.addrsig
	.addrsig_sym __hip_cuid_aeb6241fc8cc5d5a
	.amdgpu_metadata
---
amdhsa.kernels:
  - .args:
      - .actual_access:  read_only
        .address_space:  global
        .offset:         0
        .size:           8
        .value_kind:     global_buffer
      - .offset:         8
        .size:           8
        .value_kind:     by_value
      - .actual_access:  read_only
        .address_space:  global
        .offset:         16
        .size:           8
        .value_kind:     global_buffer
      - .actual_access:  read_only
        .address_space:  global
        .offset:         24
        .size:           8
        .value_kind:     global_buffer
      - .offset:         32
        .size:           8
        .value_kind:     by_value
      - .actual_access:  read_only
        .address_space:  global
        .offset:         40
        .size:           8
        .value_kind:     global_buffer
      - .actual_access:  read_only
        .address_space:  global
        .offset:         48
        .size:           8
        .value_kind:     global_buffer
      - .offset:         56
        .size:           4
        .value_kind:     by_value
      - .actual_access:  read_only
        .address_space:  global
        .offset:         64
        .size:           8
        .value_kind:     global_buffer
      - .actual_access:  read_only
        .address_space:  global
        .offset:         72
        .size:           8
        .value_kind:     global_buffer
      - .address_space:  global
        .offset:         80
        .size:           8
        .value_kind:     global_buffer
    .group_segment_fixed_size: 0
    .kernarg_segment_align: 8
    .kernarg_segment_size: 88
    .language:       OpenCL C
    .language_version:
      - 2
      - 0
    .max_flat_workgroup_size: 117
    .name:           fft_rtc_fwd_len390_factors_13_3_10_wgs_117_tpt_39_dp_ip_CI_unitstride_sbrr_dirReg
    .private_segment_fixed_size: 0
    .sgpr_count:     44
    .sgpr_spill_count: 0
    .symbol:         fft_rtc_fwd_len390_factors_13_3_10_wgs_117_tpt_39_dp_ip_CI_unitstride_sbrr_dirReg.kd
    .uniform_work_group_size: 1
    .uses_dynamic_stack: false
    .vgpr_count:     214
    .vgpr_spill_count: 0
    .wavefront_size: 32
    .workgroup_processor_mode: 1
amdhsa.target:   amdgcn-amd-amdhsa--gfx1201
amdhsa.version:
  - 1
  - 2
...

	.end_amdgpu_metadata
